;; amdgpu-corpus repo=ROCm/rocFFT kind=compiled arch=gfx906 opt=O3
	.text
	.amdgcn_target "amdgcn-amd-amdhsa--gfx906"
	.amdhsa_code_object_version 6
	.protected	fft_rtc_fwd_len1848_factors_3_11_7_4_2_wgs_231_tpt_231_halfLds_half_op_CI_CI_sbrr_dirReg ; -- Begin function fft_rtc_fwd_len1848_factors_3_11_7_4_2_wgs_231_tpt_231_halfLds_half_op_CI_CI_sbrr_dirReg
	.globl	fft_rtc_fwd_len1848_factors_3_11_7_4_2_wgs_231_tpt_231_halfLds_half_op_CI_CI_sbrr_dirReg
	.p2align	8
	.type	fft_rtc_fwd_len1848_factors_3_11_7_4_2_wgs_231_tpt_231_halfLds_half_op_CI_CI_sbrr_dirReg,@function
fft_rtc_fwd_len1848_factors_3_11_7_4_2_wgs_231_tpt_231_halfLds_half_op_CI_CI_sbrr_dirReg: ; @fft_rtc_fwd_len1848_factors_3_11_7_4_2_wgs_231_tpt_231_halfLds_half_op_CI_CI_sbrr_dirReg
; %bb.0:
	s_load_dwordx4 s[16:19], s[4:5], 0x18
	s_load_dwordx4 s[12:15], s[4:5], 0x0
	;; [unrolled: 1-line block ×3, first 2 shown]
	v_mul_u32_u24_e32 v1, 0x11c, v0
	v_mov_b32_e32 v3, 0
	s_waitcnt lgkmcnt(0)
	s_load_dwordx2 s[2:3], s[16:17], 0x0
	s_load_dwordx2 s[20:21], s[18:19], 0x0
	v_cmp_lt_u64_e64 s[0:1], s[14:15], 2
	v_mov_b32_e32 v8, 0
	v_add_u32_sdwa v10, s6, v1 dst_sel:DWORD dst_unused:UNUSED_PAD src0_sel:DWORD src1_sel:WORD_1
	v_mov_b32_e32 v11, v3
	s_and_b64 vcc, exec, s[0:1]
	v_mov_b32_e32 v9, 0
	s_cbranch_vccnz .LBB0_8
; %bb.1:
	s_load_dwordx2 s[0:1], s[4:5], 0x10
	s_add_u32 s6, s18, 8
	s_addc_u32 s7, s19, 0
	s_add_u32 s22, s16, 8
	s_addc_u32 s23, s17, 0
	v_mov_b32_e32 v8, 0
	s_waitcnt lgkmcnt(0)
	s_add_u32 s24, s0, 8
	v_mov_b32_e32 v9, 0
	v_mov_b32_e32 v1, v8
	s_addc_u32 s25, s1, 0
	s_mov_b64 s[26:27], 1
	v_mov_b32_e32 v2, v9
.LBB0_2:                                ; =>This Inner Loop Header: Depth=1
	s_load_dwordx2 s[28:29], s[24:25], 0x0
                                        ; implicit-def: $vgpr5_vgpr6
	s_waitcnt lgkmcnt(0)
	v_or_b32_e32 v4, s29, v11
	v_cmp_ne_u64_e32 vcc, 0, v[3:4]
	s_and_saveexec_b64 s[0:1], vcc
	s_xor_b64 s[30:31], exec, s[0:1]
	s_cbranch_execz .LBB0_4
; %bb.3:                                ;   in Loop: Header=BB0_2 Depth=1
	v_cvt_f32_u32_e32 v4, s28
	v_cvt_f32_u32_e32 v5, s29
	s_sub_u32 s0, 0, s28
	s_subb_u32 s1, 0, s29
	v_mac_f32_e32 v4, 0x4f800000, v5
	v_rcp_f32_e32 v4, v4
	v_mul_f32_e32 v4, 0x5f7ffffc, v4
	v_mul_f32_e32 v5, 0x2f800000, v4
	v_trunc_f32_e32 v5, v5
	v_mac_f32_e32 v4, 0xcf800000, v5
	v_cvt_u32_f32_e32 v5, v5
	v_cvt_u32_f32_e32 v4, v4
	v_mul_lo_u32 v6, s0, v5
	v_mul_hi_u32 v7, s0, v4
	v_mul_lo_u32 v13, s1, v4
	v_mul_lo_u32 v12, s0, v4
	v_add_u32_e32 v6, v7, v6
	v_add_u32_e32 v6, v6, v13
	v_mul_hi_u32 v7, v4, v12
	v_mul_lo_u32 v13, v4, v6
	v_mul_hi_u32 v15, v4, v6
	v_mul_hi_u32 v14, v5, v12
	v_mul_lo_u32 v12, v5, v12
	v_mul_hi_u32 v16, v5, v6
	v_add_co_u32_e32 v7, vcc, v7, v13
	v_addc_co_u32_e32 v13, vcc, 0, v15, vcc
	v_mul_lo_u32 v6, v5, v6
	v_add_co_u32_e32 v7, vcc, v7, v12
	v_addc_co_u32_e32 v7, vcc, v13, v14, vcc
	v_addc_co_u32_e32 v12, vcc, 0, v16, vcc
	v_add_co_u32_e32 v6, vcc, v7, v6
	v_addc_co_u32_e32 v7, vcc, 0, v12, vcc
	v_add_co_u32_e32 v4, vcc, v4, v6
	v_addc_co_u32_e32 v5, vcc, v5, v7, vcc
	v_mul_lo_u32 v6, s0, v5
	v_mul_hi_u32 v7, s0, v4
	v_mul_lo_u32 v12, s1, v4
	v_mul_lo_u32 v13, s0, v4
	v_add_u32_e32 v6, v7, v6
	v_add_u32_e32 v6, v6, v12
	v_mul_lo_u32 v14, v4, v6
	v_mul_hi_u32 v15, v4, v13
	v_mul_hi_u32 v16, v4, v6
	;; [unrolled: 1-line block ×3, first 2 shown]
	v_mul_lo_u32 v13, v5, v13
	v_mul_hi_u32 v7, v5, v6
	v_add_co_u32_e32 v14, vcc, v15, v14
	v_addc_co_u32_e32 v15, vcc, 0, v16, vcc
	v_mul_lo_u32 v6, v5, v6
	v_add_co_u32_e32 v13, vcc, v14, v13
	v_addc_co_u32_e32 v12, vcc, v15, v12, vcc
	v_addc_co_u32_e32 v7, vcc, 0, v7, vcc
	v_add_co_u32_e32 v6, vcc, v12, v6
	v_addc_co_u32_e32 v7, vcc, 0, v7, vcc
	v_add_co_u32_e32 v6, vcc, v4, v6
	v_addc_co_u32_e32 v7, vcc, v5, v7, vcc
	v_mad_u64_u32 v[4:5], s[0:1], v10, v7, 0
	v_mul_hi_u32 v12, v10, v6
	v_add_co_u32_e32 v12, vcc, v12, v4
	v_addc_co_u32_e32 v13, vcc, 0, v5, vcc
	v_mad_u64_u32 v[4:5], s[0:1], v11, v6, 0
	v_mad_u64_u32 v[6:7], s[0:1], v11, v7, 0
	v_add_co_u32_e32 v4, vcc, v12, v4
	v_addc_co_u32_e32 v4, vcc, v13, v5, vcc
	v_addc_co_u32_e32 v5, vcc, 0, v7, vcc
	v_add_co_u32_e32 v7, vcc, v4, v6
	v_addc_co_u32_e32 v6, vcc, 0, v5, vcc
	v_mul_lo_u32 v12, s29, v7
	v_mul_lo_u32 v13, s28, v6
	v_mad_u64_u32 v[4:5], s[0:1], s28, v7, 0
	v_add3_u32 v5, v5, v13, v12
	v_sub_u32_e32 v12, v11, v5
	v_mov_b32_e32 v13, s29
	v_sub_co_u32_e32 v4, vcc, v10, v4
	v_subb_co_u32_e64 v12, s[0:1], v12, v13, vcc
	v_subrev_co_u32_e64 v13, s[0:1], s28, v4
	v_subbrev_co_u32_e64 v12, s[0:1], 0, v12, s[0:1]
	v_cmp_le_u32_e64 s[0:1], s29, v12
	v_cndmask_b32_e64 v14, 0, -1, s[0:1]
	v_cmp_le_u32_e64 s[0:1], s28, v13
	v_cndmask_b32_e64 v13, 0, -1, s[0:1]
	v_cmp_eq_u32_e64 s[0:1], s29, v12
	v_cndmask_b32_e64 v12, v14, v13, s[0:1]
	v_add_co_u32_e64 v13, s[0:1], 2, v7
	v_addc_co_u32_e64 v14, s[0:1], 0, v6, s[0:1]
	v_add_co_u32_e64 v15, s[0:1], 1, v7
	v_addc_co_u32_e64 v16, s[0:1], 0, v6, s[0:1]
	v_subb_co_u32_e32 v5, vcc, v11, v5, vcc
	v_cmp_ne_u32_e64 s[0:1], 0, v12
	v_cmp_le_u32_e32 vcc, s29, v5
	v_cndmask_b32_e64 v12, v16, v14, s[0:1]
	v_cndmask_b32_e64 v14, 0, -1, vcc
	v_cmp_le_u32_e32 vcc, s28, v4
	v_cndmask_b32_e64 v4, 0, -1, vcc
	v_cmp_eq_u32_e32 vcc, s29, v5
	v_cndmask_b32_e32 v4, v14, v4, vcc
	v_cmp_ne_u32_e32 vcc, 0, v4
	v_cndmask_b32_e64 v4, v15, v13, s[0:1]
	v_cndmask_b32_e32 v6, v6, v12, vcc
	v_cndmask_b32_e32 v5, v7, v4, vcc
.LBB0_4:                                ;   in Loop: Header=BB0_2 Depth=1
	s_andn2_saveexec_b64 s[0:1], s[30:31]
	s_cbranch_execz .LBB0_6
; %bb.5:                                ;   in Loop: Header=BB0_2 Depth=1
	v_cvt_f32_u32_e32 v4, s28
	s_sub_i32 s30, 0, s28
	v_rcp_iflag_f32_e32 v4, v4
	v_mul_f32_e32 v4, 0x4f7ffffe, v4
	v_cvt_u32_f32_e32 v4, v4
	v_mul_lo_u32 v5, s30, v4
	v_mul_hi_u32 v5, v4, v5
	v_add_u32_e32 v4, v4, v5
	v_mul_hi_u32 v4, v10, v4
	v_mul_lo_u32 v5, v4, s28
	v_add_u32_e32 v6, 1, v4
	v_sub_u32_e32 v5, v10, v5
	v_subrev_u32_e32 v7, s28, v5
	v_cmp_le_u32_e32 vcc, s28, v5
	v_cndmask_b32_e32 v5, v5, v7, vcc
	v_cndmask_b32_e32 v4, v4, v6, vcc
	v_add_u32_e32 v6, 1, v4
	v_cmp_le_u32_e32 vcc, s28, v5
	v_cndmask_b32_e32 v5, v4, v6, vcc
	v_mov_b32_e32 v6, v3
.LBB0_6:                                ;   in Loop: Header=BB0_2 Depth=1
	s_or_b64 exec, exec, s[0:1]
	v_mul_lo_u32 v4, v6, s28
	v_mul_lo_u32 v7, v5, s29
	v_mad_u64_u32 v[12:13], s[0:1], v5, s28, 0
	s_load_dwordx2 s[0:1], s[22:23], 0x0
	s_load_dwordx2 s[28:29], s[6:7], 0x0
	v_add3_u32 v4, v13, v7, v4
	v_sub_co_u32_e32 v7, vcc, v10, v12
	v_subb_co_u32_e32 v4, vcc, v11, v4, vcc
	s_waitcnt lgkmcnt(0)
	v_mul_lo_u32 v10, s0, v4
	v_mul_lo_u32 v11, s1, v7
	v_mad_u64_u32 v[8:9], s[0:1], s0, v7, v[8:9]
	s_add_u32 s26, s26, 1
	s_addc_u32 s27, s27, 0
	s_add_u32 s6, s6, 8
	v_mul_lo_u32 v4, s28, v4
	v_mul_lo_u32 v12, s29, v7
	v_mad_u64_u32 v[1:2], s[0:1], s28, v7, v[1:2]
	v_add3_u32 v9, v11, v9, v10
	s_addc_u32 s7, s7, 0
	v_mov_b32_e32 v10, s14
	s_add_u32 s22, s22, 8
	v_mov_b32_e32 v11, s15
	s_addc_u32 s23, s23, 0
	v_cmp_ge_u64_e32 vcc, s[26:27], v[10:11]
	s_add_u32 s24, s24, 8
	v_add3_u32 v2, v12, v2, v4
	s_addc_u32 s25, s25, 0
	s_cbranch_vccnz .LBB0_9
; %bb.7:                                ;   in Loop: Header=BB0_2 Depth=1
	v_mov_b32_e32 v11, v6
	v_mov_b32_e32 v10, v5
	s_branch .LBB0_2
.LBB0_8:
	v_mov_b32_e32 v1, v8
	v_mov_b32_e32 v5, v10
	;; [unrolled: 1-line block ×4, first 2 shown]
.LBB0_9:
	s_load_dwordx2 s[0:1], s[4:5], 0x28
	s_lshl_b64 s[14:15], s[14:15], 3
	s_add_u32 s4, s18, s14
	s_addc_u32 s5, s19, s15
                                        ; implicit-def: $vgpr3
                                        ; implicit-def: $vgpr7
	s_waitcnt lgkmcnt(0)
	v_cmp_gt_u64_e32 vcc, s[0:1], v[5:6]
	v_cmp_le_u64_e64 s[0:1], s[0:1], v[5:6]
	s_and_saveexec_b64 s[6:7], s[0:1]
	s_xor_b64 s[0:1], exec, s[6:7]
; %bb.10:
	s_mov_b32 s6, 0x11bb4a5
	v_mul_hi_u32 v3, v0, s6
                                        ; implicit-def: $vgpr8_vgpr9
	v_mul_u32_u24_e32 v3, 0xe7, v3
	v_sub_u32_e32 v3, v0, v3
	v_add_u32_e32 v7, 0xe7, v3
                                        ; implicit-def: $vgpr0
; %bb.11:
	s_or_saveexec_b64 s[6:7], s[0:1]
	s_load_dwordx2 s[4:5], s[4:5], 0x0
                                        ; implicit-def: $vgpr22
                                        ; implicit-def: $vgpr4
                                        ; implicit-def: $vgpr23
                                        ; implicit-def: $vgpr10
                                        ; implicit-def: $vgpr31
                                        ; implicit-def: $vgpr20
                                        ; implicit-def: $vgpr24
                                        ; implicit-def: $vgpr16
                                        ; implicit-def: $vgpr30
                                        ; implicit-def: $vgpr11
                                        ; implicit-def: $vgpr32
                                        ; implicit-def: $vgpr21
                                        ; implicit-def: $vgpr27
                                        ; implicit-def: $vgpr17
                                        ; implicit-def: $vgpr28
                                        ; implicit-def: $vgpr25
                                        ; implicit-def: $vgpr29
                                        ; implicit-def: $vgpr26
	s_xor_b64 exec, exec, s[6:7]
	s_cbranch_execz .LBB0_15
; %bb.12:
	s_add_u32 s0, s16, s14
	s_mov_b32 s14, 0x11bb4a5
	v_mul_hi_u32 v3, v0, s14
	s_addc_u32 s1, s17, s15
	s_load_dwordx2 s[0:1], s[0:1], 0x0
                                        ; implicit-def: $vgpr29
                                        ; implicit-def: $vgpr28
	v_mul_u32_u24_e32 v3, 0xe7, v3
	v_sub_u32_e32 v3, v0, v3
	v_mad_u64_u32 v[10:11], s[14:15], s2, v3, 0
	s_waitcnt lgkmcnt(0)
	v_mul_lo_u32 v4, s1, v5
	v_mul_lo_u32 v7, s0, v6
	v_mad_u64_u32 v[12:13], s[0:1], s0, v5, 0
	v_mov_b32_e32 v0, v11
	v_mad_u64_u32 v[14:15], s[0:1], s3, v3, v[0:1]
	v_add3_u32 v13, v13, v7, v4
	v_lshlrev_b64 v[12:13], 2, v[12:13]
	v_mov_b32_e32 v0, s9
	v_add_co_u32_e64 v4, s[0:1], s8, v12
	v_add_u32_e32 v15, 0x268, v3
	v_mov_b32_e32 v11, v14
	v_addc_co_u32_e64 v14, s[0:1], v0, v13, s[0:1]
	v_mad_u64_u32 v[12:13], s[0:1], s2, v15, 0
	v_lshlrev_b64 v[7:8], 2, v[8:9]
	v_lshlrev_b64 v[9:10], 2, v[10:11]
	v_add_co_u32_e64 v0, s[0:1], v4, v7
	v_mov_b32_e32 v4, v13
	v_addc_co_u32_e64 v8, s[0:1], v14, v8, s[0:1]
	v_mad_u64_u32 v[13:14], s[0:1], s3, v15, v[4:5]
	v_add_u32_e32 v7, 0x4d0, v3
	v_mad_u64_u32 v[14:15], s[0:1], s2, v7, 0
	v_add_co_u32_e64 v17, s[0:1], v0, v9
	v_mov_b32_e32 v4, v15
	v_addc_co_u32_e64 v18, s[0:1], v8, v10, s[0:1]
	v_lshlrev_b64 v[9:10], 2, v[12:13]
	v_mad_u64_u32 v[11:12], s[0:1], s3, v7, v[4:5]
	v_add_u32_e32 v7, 0xe7, v3
	v_mad_u64_u32 v[12:13], s[0:1], s2, v7, 0
	v_add_co_u32_e64 v22, s[0:1], v0, v9
	v_mov_b32_e32 v15, v11
	v_mov_b32_e32 v4, v13
	v_addc_co_u32_e64 v23, s[0:1], v8, v10, s[0:1]
	v_lshlrev_b64 v[9:10], 2, v[14:15]
	v_mad_u64_u32 v[13:14], s[0:1], s3, v7, v[4:5]
	v_add_u32_e32 v11, 0x34f, v3
	v_mad_u64_u32 v[14:15], s[0:1], s2, v11, 0
	v_add_co_u32_e64 v24, s[0:1], v0, v9
	v_mov_b32_e32 v4, v15
	v_addc_co_u32_e64 v25, s[0:1], v8, v10, s[0:1]
	v_lshlrev_b64 v[9:10], 2, v[12:13]
	v_mad_u64_u32 v[11:12], s[0:1], s3, v11, v[4:5]
	v_add_u32_e32 v16, 0x5b7, v3
	v_mad_u64_u32 v[12:13], s[0:1], s2, v16, 0
	v_add_co_u32_e64 v26, s[0:1], v0, v9
	v_mov_b32_e32 v15, v11
	v_mov_b32_e32 v4, v13
	v_addc_co_u32_e64 v27, s[0:1], v8, v10, s[0:1]
	v_lshlrev_b64 v[9:10], 2, v[14:15]
	v_mad_u64_u32 v[13:14], s[0:1], s3, v16, v[4:5]
	v_add_co_u32_e64 v14, s[0:1], v0, v9
	v_addc_co_u32_e64 v15, s[0:1], v8, v10, s[0:1]
	v_lshlrev_b64 v[9:10], 2, v[12:13]
	v_add_co_u32_e64 v12, s[0:1], v0, v9
	v_addc_co_u32_e64 v13, s[0:1], v8, v10, s[0:1]
	global_load_dword v4, v[17:18], off
	global_load_dword v10, v[22:23], off
	;; [unrolled: 1-line block ×6, first 2 shown]
	s_movk_i32 s0, 0x9a
	v_cmp_gt_u32_e64 s[0:1], s0, v3
                                        ; implicit-def: $vgpr26
                                        ; implicit-def: $vgpr25
                                        ; implicit-def: $vgpr17
                                        ; implicit-def: $vgpr27
	s_and_saveexec_b64 s[8:9], s[0:1]
	s_cbranch_execz .LBB0_14
; %bb.13:
	v_add_u32_e32 v17, 0x1ce, v3
	v_mad_u64_u32 v[12:13], s[0:1], s2, v17, 0
	v_add_u32_e32 v19, 0x436, v3
	v_mad_u64_u32 v[14:15], s[0:1], s2, v19, 0
	v_mov_b32_e32 v9, v13
	s_waitcnt vmcnt(4)
	v_mad_u64_u32 v[17:18], s[0:1], s3, v17, v[9:10]
	v_mov_b32_e32 v9, v15
	v_add_u32_e32 v22, 0x69e, v3
	v_mov_b32_e32 v13, v17
	v_mad_u64_u32 v[17:18], s[0:1], s3, v19, v[9:10]
	v_mad_u64_u32 v[18:19], s[0:1], s2, v22, 0
	v_lshlrev_b64 v[12:13], 2, v[12:13]
	v_mov_b32_e32 v15, v17
	v_add_co_u32_e64 v12, s[0:1], v0, v12
	v_mov_b32_e32 v9, v19
	v_addc_co_u32_e64 v13, s[0:1], v8, v13, s[0:1]
	v_mad_u64_u32 v[22:23], s[0:1], s3, v22, v[9:10]
	v_lshlrev_b64 v[14:15], 2, v[14:15]
	v_mov_b32_e32 v19, v22
	v_add_co_u32_e64 v14, s[0:1], v0, v14
	v_lshlrev_b64 v[17:18], 2, v[18:19]
	v_addc_co_u32_e64 v15, s[0:1], v8, v15, s[0:1]
	v_add_co_u32_e64 v22, s[0:1], v0, v17
	v_addc_co_u32_e64 v23, s[0:1], v8, v18, s[0:1]
	global_load_dword v17, v[12:13], off
	global_load_dword v25, v[14:15], off
	global_load_dword v26, v[22:23], off
	s_waitcnt vmcnt(2)
	v_lshrrev_b32_e32 v27, 16, v17
	s_waitcnt vmcnt(1)
	v_lshrrev_b32_e32 v28, 16, v25
	;; [unrolled: 2-line block ×3, first 2 shown]
.LBB0_14:
	s_or_b64 exec, exec, s[8:9]
	s_waitcnt vmcnt(5)
	v_lshrrev_b32_e32 v22, 16, v4
	s_waitcnt vmcnt(4)
	v_lshrrev_b32_e32 v23, 16, v10
	;; [unrolled: 2-line block ×6, first 2 shown]
.LBB0_15:
	s_or_b64 exec, exec, s[6:7]
	v_add_f16_e32 v0, v10, v20
	v_fma_f16 v0, v0, -0.5, v4
	v_sub_f16_e32 v9, v23, v31
	s_movk_i32 s0, 0x3aee
	s_mov_b32 s1, 0xbaee
	v_fma_f16 v8, v9, s0, v0
	v_fma_f16 v9, v9, s1, v0
	v_add_f16_e32 v0, v11, v21
	v_fma_f16 v0, v0, -0.5, v16
	v_sub_f16_e32 v13, v30, v32
	v_fma_f16 v12, v13, s0, v0
	v_fma_f16 v13, v13, s1, v0
	v_add_f16_e32 v0, v25, v26
	v_fma_f16 v0, v0, -0.5, v17
	v_sub_f16_e32 v15, v28, v29
	v_fma_f16 v14, v15, s0, v0
	v_fma_f16 v15, v15, s1, v0
	v_add_f16_e32 v0, v4, v10
	v_add_f16_e32 v4, v16, v11
	;; [unrolled: 1-line block ×4, first 2 shown]
	v_mad_u32_u24 v35, v3, 6, 0
	v_mad_i32_i24 v4, v7, 6, 0
	ds_write_b16 v35, v0
	ds_write_b16 v35, v8 offset:2
	ds_write_b16 v35, v9 offset:4
	ds_write_b16 v4, v16
	ds_write_b16 v4, v12 offset:2
	ds_write_b16 v4, v13 offset:4
	v_add_f16_e32 v4, v17, v25
	s_movk_i32 s0, 0x9a
	v_add_f16_e32 v17, v4, v26
	v_cmp_gt_u32_e64 s[2:3], s0, v3
	s_and_saveexec_b64 s[0:1], s[2:3]
	s_cbranch_execz .LBB0_17
; %bb.16:
	ds_write_b16 v35, v17 offset:2772
	ds_write_b16 v35, v14 offset:2774
	;; [unrolled: 1-line block ×3, first 2 shown]
.LBB0_17:
	s_or_b64 exec, exec, s[0:1]
	s_movk_i32 s0, 0xa8
	v_mul_i32_i24_e32 v33, 6, v7
	v_cmp_gt_u32_e64 s[0:1], s0, v3
	v_lshlrev_b32_e32 v36, 2, v3
	s_waitcnt lgkmcnt(0)
	s_barrier
	s_waitcnt lgkmcnt(0)
                                        ; implicit-def: $vgpr18
                                        ; implicit-def: $vgpr19
	s_and_saveexec_b64 s[6:7], s[0:1]
	s_cbranch_execz .LBB0_19
; %bb.18:
	v_sub_u32_e32 v4, v35, v36
	ds_read_u16 v0, v4
	ds_read_u16 v8, v4 offset:336
	ds_read_u16 v9, v4 offset:672
	;; [unrolled: 1-line block ×10, first 2 shown]
.LBB0_19:
	s_or_b64 exec, exec, s[6:7]
	v_add_f16_e32 v4, v22, v23
	v_add_f16_e32 v23, v23, v31
	v_fma_f16 v22, v23, -0.5, v22
	v_sub_f16_e32 v10, v10, v20
	s_mov_b32 s6, 0xbaee
	s_movk_i32 s7, 0x3aee
	v_fma_f16 v20, v10, s6, v22
	v_fma_f16 v22, v10, s7, v22
	v_add_f16_e32 v10, v24, v30
	v_add_f16_e32 v23, v10, v32
	v_add_f16_e32 v10, v30, v32
	v_fma_f16 v10, v10, -0.5, v24
	v_sub_f16_e32 v11, v11, v21
	v_fma_f16 v24, v11, s6, v10
	v_fma_f16 v21, v11, s7, v10
	v_add_f16_e32 v10, v27, v28
	v_add_f16_e32 v30, v10, v29
	v_add_f16_e32 v10, v28, v29
	v_fma_f16 v10, v10, -0.5, v27
	v_sub_f16_e32 v11, v25, v26
	v_add_f16_e32 v4, v4, v31
	v_fma_f16 v31, v11, s6, v10
	v_fma_f16 v32, v11, s7, v10
	v_add_u32_e32 v10, 0, v33
	s_waitcnt lgkmcnt(0)
	s_barrier
	ds_write_b16 v35, v4
	ds_write_b16 v35, v20 offset:2
	ds_write_b16 v35, v22 offset:4
	ds_write_b16 v10, v23
	ds_write_b16 v10, v24 offset:2
	ds_write_b16 v10, v21 offset:4
	s_and_saveexec_b64 s[6:7], s[2:3]
	s_cbranch_execz .LBB0_21
; %bb.20:
	ds_write_b16 v35, v30 offset:2772
	ds_write_b16 v35, v31 offset:2774
	;; [unrolled: 1-line block ×3, first 2 shown]
.LBB0_21:
	s_or_b64 exec, exec, s[6:7]
	s_waitcnt lgkmcnt(0)
	s_barrier
	s_waitcnt lgkmcnt(0)
                                        ; implicit-def: $vgpr33
                                        ; implicit-def: $vgpr34
	s_and_saveexec_b64 s[2:3], s[0:1]
	s_cbranch_execz .LBB0_23
; %bb.22:
	v_sub_u32_e32 v10, v35, v36
	ds_read_u16 v4, v10
	ds_read_u16 v20, v10 offset:336
	ds_read_u16 v22, v10 offset:672
	;; [unrolled: 1-line block ×10, first 2 shown]
.LBB0_23:
	s_or_b64 exec, exec, s[2:3]
	s_movk_i32 s2, 0xab
	v_mul_lo_u16_sdwa v10, v3, s2 dst_sel:DWORD dst_unused:UNUSED_PAD src0_sel:BYTE_0 src1_sel:DWORD
	v_lshrrev_b16_e32 v10, 9, v10
	v_mul_lo_u16_e32 v11, 3, v10
	v_sub_u16_e32 v11, v3, v11
	v_mov_b32_e32 v25, 10
	v_mul_u32_u24_sdwa v25, v11, v25 dst_sel:DWORD dst_unused:UNUSED_PAD src0_sel:BYTE_0 src1_sel:DWORD
	v_lshlrev_b32_e32 v29, 2, v25
	global_load_dwordx4 v[25:28], v29, s[12:13]
	global_load_dwordx4 v[39:42], v29, s[12:13] offset:16
	global_load_dwordx2 v[43:44], v29, s[12:13] offset:32
	s_mov_b32 s2, 0xb853bb47
	s_mov_b32 s6, 0x3abb36a6
	;; [unrolled: 1-line block ×15, first 2 shown]
	s_waitcnt vmcnt(0) lgkmcnt(0)
	s_barrier
	v_mul_f16_sdwa v29, v20, v25 dst_sel:DWORD dst_unused:UNUSED_PAD src0_sel:DWORD src1_sel:WORD_1
	v_mul_f16_sdwa v36, v8, v25 dst_sel:DWORD dst_unused:UNUSED_PAD src0_sel:DWORD src1_sel:WORD_1
	;; [unrolled: 1-line block ×14, first 2 shown]
	v_fma_f16 v35, v8, v25, -v29
	v_fma_f16 v25, v20, v25, v36
	v_fma_f16 v34, v34, v44, v60
	v_mul_f16_sdwa v45, v23, v27 dst_sel:DWORD dst_unused:UNUSED_PAD src0_sel:DWORD src1_sel:WORD_1
	v_mul_f16_sdwa v46, v16, v27 dst_sel:DWORD dst_unused:UNUSED_PAD src0_sel:DWORD src1_sel:WORD_1
	v_mul_f16_sdwa v50, v13, v39 dst_sel:DWORD dst_unused:UNUSED_PAD src0_sel:DWORD src1_sel:WORD_1
	v_mul_f16_sdwa v53, v31, v41 dst_sel:DWORD dst_unused:UNUSED_PAD src0_sel:DWORD src1_sel:WORD_1
	v_mul_f16_sdwa v54, v14, v41 dst_sel:DWORD dst_unused:UNUSED_PAD src0_sel:DWORD src1_sel:WORD_1
	v_mul_f16_sdwa v57, v33, v43 dst_sel:DWORD dst_unused:UNUSED_PAD src0_sel:DWORD src1_sel:WORD_1
	v_fma_f16 v36, v9, v26, -v37
	v_fma_f16 v26, v22, v26, v38
	v_fma_f16 v38, v12, v28, -v47
	v_fma_f16 v28, v24, v28, v48
	v_fma_f16 v13, v13, v39, -v49
	v_fma_f16 v24, v17, v40, -v51
	v_fma_f16 v30, v30, v40, v52
	v_fma_f16 v40, v15, v42, -v55
	v_fma_f16 v32, v32, v42, v56
	v_fma_f16 v33, v33, v43, v58
	v_fma_f16 v42, v19, v44, -v59
	v_sub_f16_e32 v49, v25, v34
	v_fma_f16 v37, v16, v27, -v45
	v_fma_f16 v27, v23, v27, v46
	v_fma_f16 v29, v21, v39, v50
	v_fma_f16 v39, v14, v41, -v53
	v_fma_f16 v31, v31, v41, v54
	v_fma_f16 v41, v18, v43, -v57
	v_add_f16_e32 v18, v35, v42
	v_sub_f16_e32 v48, v26, v33
	v_pk_mul_f16 v16, v49, s2 op_sel_hi:[0,1]
	v_add_f16_e32 v19, v36, v41
	v_sub_f16_e32 v46, v27, v32
	v_pk_mul_f16 v14, v48, s3 op_sel_hi:[0,1]
	v_pk_fma_f16 v8, v18, s6, v16 op_sel_hi:[0,1,1]
	v_add_f16_e32 v20, v37, v40
	v_sub_f16_e32 v45, v28, v31
	v_pk_mul_f16 v43, v49, s19 op_sel_hi:[0,1]
	v_pk_mul_f16 v17, v46, s18 op_sel_hi:[0,1]
	v_pk_fma_f16 v12, v19, s7, v14 op_sel_hi:[0,1,1]
	v_pk_add_f16 v8, v0, v8 op_sel_hi:[0,1]
	v_add_f16_e32 v21, v38, v39
	v_sub_f16_e32 v44, v29, v30
	v_pk_mul_f16 v23, v48, s22 op_sel_hi:[0,1]
	v_pk_mul_f16 v15, v45, s23 op_sel_hi:[0,1]
	v_pk_fma_f16 v47, v18, s9, v43 op_sel_hi:[0,1,1]
	v_pk_fma_f16 v51, v20, s8, v17 op_sel_hi:[0,1,1]
	v_pk_add_f16 v8, v12, v8
	v_add_f16_e32 v22, v13, v24
	v_pk_mul_f16 v9, v44, s24 op_sel_hi:[0,1]
	v_pk_fma_f16 v50, v19, s14, v23 op_sel_hi:[0,1,1]
	v_pk_fma_f16 v52, v21, s15, v15 op_sel_hi:[0,1,1]
	v_pk_add_f16 v47, v0, v47 op_sel_hi:[0,1]
	v_pk_add_f16 v8, v51, v8
	s_mov_b32 s2, 0x3b47b853
	v_pk_fma_f16 v53, v22, s16, v9 op_sel_hi:[0,1,1]
	v_pk_add_f16 v50, v50, v47
	v_pk_add_f16 v8, v52, v8
	v_pk_mul_f16 v47, v46, s2 op_sel_hi:[0,1]
	v_pk_add_f16 v12, v53, v8
	v_pk_fma_f16 v8, v20, s17, v47 op_sel_hi:[0,1,1]
	s_mov_b32 s2, 0xb853b482
	v_pk_add_f16 v8, v8, v50
	s_mov_b32 s18, 0x3abbbbad
	v_pk_mul_f16 v50, v45, s2 op_sel_hi:[0,1]
	v_pk_fma_f16 v51, v21, s18, v50 op_sel_hi:[0,1,1]
	s_mov_b32 s2, 0xba0c3b47
	v_pk_add_f16 v8, v51, v8
	s_mov_b32 s19, 0xb93d36a6
	v_pk_mul_f16 v51, v44, s2 op_sel_hi:[0,1]
	v_pk_fma_f16 v52, v22, s19, v51 op_sel_hi:[0,1,1]
	v_pk_add_f16 v8, v52, v8
	s_and_saveexec_b64 s[2:3], s[0:1]
	s_cbranch_execz .LBB0_25
; %bb.24:
	v_pk_mul_f16 v52, v18, s6 op_sel_hi:[0,1]
	v_mul_f16_e32 v49, 0xb482, v49
	s_mov_b32 s6, 0xbbad
	v_pk_mul_f16 v53, v19, s7 op_sel_hi:[0,1]
	v_pk_mul_f16 v57, v18, s9 op_sel_hi:[0,1]
	v_fma_f16 v63, v18, s6, v49
	v_mul_f16_e32 v48, 0x3853, v48
	s_movk_i32 s7, 0x3abb
	v_fma_f16 v18, v18, s6, -v49
	v_pk_mul_f16 v54, v20, s8 op_sel_hi:[0,1]
	v_pk_mul_f16 v58, v19, s14 op_sel_hi:[0,1]
	v_fma_f16 v64, v19, s7, v48
	v_mul_f16_e32 v46, 0xba0c, v46
	s_mov_b32 s8, 0xb93d
	v_add_f16_e32 v18, v0, v18
	v_fma_f16 v19, v19, s7, -v48
	v_mul_f16_e32 v45, 0x3b47, v45
	s_movk_i32 s9, 0x36a6
	v_add_f16_e32 v18, v19, v18
	v_fma_f16 v19, v20, s8, -v46
	v_add_f16_e32 v62, v0, v35
	v_mul_f16_e32 v44, 0xbbeb, v44
	s_mov_b32 s14, 0xb08e
	v_add_f16_e32 v18, v19, v18
	v_fma_f16 v19, v21, s9, -v45
	v_add_f16_e32 v62, v62, v36
	v_add_f16_e32 v63, v0, v63
	v_add_f16_e32 v18, v19, v18
	v_fma_f16 v19, v22, s14, -v44
	v_add_f16_e32 v62, v62, v37
	v_add_f16_e32 v63, v64, v63
	v_fma_f16 v64, v20, s8, v46
	v_add_f16_e32 v18, v19, v18
	v_pk_add_f16 v19, v57, v43 neg_lo:[0,1] neg_hi:[0,1]
	v_pk_mul_f16 v55, v21, s15 op_sel_hi:[0,1]
	v_pk_mul_f16 v59, v20, s17 op_sel_hi:[0,1]
	;; [unrolled: 1-line block ×3, first 2 shown]
	v_add_f16_e32 v62, v62, v38
	v_add_f16_e32 v63, v64, v63
	v_fma_f16 v64, v21, s9, v45
	v_add_f16_e32 v20, v0, v19
	v_pk_add_f16 v21, v58, v23 neg_lo:[0,1] neg_hi:[0,1]
	v_add_f16_sdwa v19, v0, v19 dst_sel:DWORD dst_unused:UNUSED_PAD src0_sel:DWORD src1_sel:WORD_1
	v_pk_add_f16 v16, v52, v16 neg_lo:[0,1] neg_hi:[0,1]
	v_add_f16_e32 v62, v62, v13
	v_add_f16_e32 v20, v21, v20
	v_add_f16_sdwa v19, v21, v19 dst_sel:DWORD dst_unused:UNUSED_PAD src0_sel:WORD_1 src1_sel:DWORD
	v_add_f16_e32 v21, v0, v16
	v_pk_add_f16 v14, v53, v14 neg_lo:[0,1] neg_hi:[0,1]
	v_add_f16_sdwa v0, v0, v16 dst_sel:DWORD dst_unused:UNUSED_PAD src0_sel:DWORD src1_sel:WORD_1
	v_add_f16_e32 v62, v62, v24
	v_add_f16_e32 v21, v14, v21
	v_pk_add_f16 v17, v54, v17 neg_lo:[0,1] neg_hi:[0,1]
	v_add_f16_sdwa v0, v14, v0 dst_sel:DWORD dst_unused:UNUSED_PAD src0_sel:WORD_1 src1_sel:DWORD
	v_pk_mul_f16 v56, v22, s16 op_sel_hi:[0,1]
	v_add_f16_e32 v62, v62, v39
	v_add_f16_e32 v21, v17, v21
	v_pk_add_f16 v15, v55, v15 neg_lo:[0,1] neg_hi:[0,1]
	v_add_f16_sdwa v0, v17, v0 dst_sel:DWORD dst_unused:UNUSED_PAD src0_sel:WORD_1 src1_sel:DWORD
	v_pk_mul_f16 v61, v22, s19 op_sel_hi:[0,1]
	v_add_f16_e32 v62, v62, v40
	v_add_f16_e32 v63, v64, v63
	v_fma_f16 v64, v22, s14, v44
	v_pk_add_f16 v22, v59, v47 neg_lo:[0,1] neg_hi:[0,1]
	v_add_f16_e32 v21, v15, v21
	v_pk_add_f16 v9, v56, v9 neg_lo:[0,1] neg_hi:[0,1]
	v_add_f16_sdwa v0, v15, v0 dst_sel:DWORD dst_unused:UNUSED_PAD src0_sel:WORD_1 src1_sel:DWORD
	v_mov_b32_e32 v14, 1
	v_add_f16_e32 v62, v62, v41
	v_add_f16_e32 v20, v22, v20
	v_pk_add_f16 v23, v60, v50 neg_lo:[0,1] neg_hi:[0,1]
	v_add_f16_sdwa v19, v22, v19 dst_sel:DWORD dst_unused:UNUSED_PAD src0_sel:WORD_1 src1_sel:DWORD
	v_add_f16_e32 v21, v9, v21
	v_add_f16_sdwa v0, v9, v0 dst_sel:DWORD dst_unused:UNUSED_PAD src0_sel:WORD_1 src1_sel:DWORD
	v_mul_u32_u24_e32 v9, 0x42, v10
	v_lshlrev_b32_sdwa v14, v14, v11 dst_sel:DWORD dst_unused:UNUSED_PAD src0_sel:DWORD src1_sel:BYTE_0
	v_add_f16_e32 v62, v62, v42
	v_add_f16_e32 v20, v23, v20
	v_pk_add_f16 v43, v61, v51 neg_lo:[0,1] neg_hi:[0,1]
	v_add_f16_sdwa v19, v23, v19 dst_sel:DWORD dst_unused:UNUSED_PAD src0_sel:WORD_1 src1_sel:DWORD
	v_add3_u32 v9, 0, v9, v14
	v_add_f16_e32 v63, v64, v63
	v_add_f16_e32 v20, v43, v20
	v_add_f16_sdwa v19, v43, v19 dst_sel:DWORD dst_unused:UNUSED_PAD src0_sel:WORD_1 src1_sel:DWORD
	ds_write_b16 v9, v62
	ds_write_b16 v9, v0 offset:6
	ds_write_b16 v9, v21 offset:12
	;; [unrolled: 1-line block ×7, first 2 shown]
	ds_write_b16_d16_hi v9, v8 offset:48
	ds_write_b16 v9, v12 offset:54
	ds_write_b16_d16_hi v9, v12 offset:60
.LBB0_25:
	s_or_b64 exec, exec, s[2:3]
	v_lshl_add_u32 v0, v3, 1, 0
	s_waitcnt lgkmcnt(0)
	s_barrier
	ds_read_u16 v14, v0
	ds_read_u16 v23, v0 offset:528
	ds_read_u16 v22, v0 offset:1056
	;; [unrolled: 1-line block ×6, first 2 shown]
	v_cmp_gt_u32_e64 s[2:3], 33, v3
	v_lshl_add_u32 v9, v7, 1, 0
                                        ; implicit-def: $vgpr17
                                        ; implicit-def: $vgpr15
                                        ; implicit-def: $vgpr19
	s_and_saveexec_b64 s[6:7], s[2:3]
	s_cbranch_execz .LBB0_27
; %bb.26:
	ds_read_u16 v8, v9
	ds_read_u16 v12, v0 offset:990
	ds_read_u16 v43, v0 offset:1518
	;; [unrolled: 1-line block ×6, first 2 shown]
	s_mov_b32 s8, 0x5040100
	s_waitcnt lgkmcnt(5)
	v_perm_b32 v8, v12, v8, s8
	s_waitcnt lgkmcnt(3)
	v_perm_b32 v12, v44, v43, s8
.LBB0_27:
	s_or_b64 exec, exec, s[6:7]
	v_sub_f16_e32 v51, v35, v42
	s_mov_b32 s6, 0xbbebb853
	v_add_f16_e32 v46, v25, v34
	v_sub_f16_e32 v48, v36, v41
	v_sub_f16_e32 v39, v38, v39
	s_mov_b32 s8, 0xb08e3abb
	v_pk_mul_f16 v38, v51, s6 op_sel_hi:[0,1]
	s_mov_b32 s6, 0x3482bb47
	v_add_f16_e32 v42, v26, v33
	v_sub_f16_e32 v44, v37, v40
	v_sub_f16_e32 v36, v13, v24
	v_pk_fma_f16 v13, v46, s8, v38 op_sel_hi:[0,1,1] neg_lo:[0,0,1] neg_hi:[0,0,1]
	s_mov_b32 s9, 0xbbad36a6
	v_pk_mul_f16 v40, v48, s6 op_sel_hi:[0,1]
	s_mov_b32 s6, 0x3b47bbeb
	v_add_f16_e32 v41, v27, v32
	v_pk_add_f16 v13, v4, v13 op_sel_hi:[0,1]
	v_pk_fma_f16 v24, v42, s9, v40 op_sel_hi:[0,1,1] neg_lo:[0,0,1] neg_hi:[0,0,1]
	s_mov_b32 s14, 0x36a6b08e
	v_pk_mul_f16 v43, v44, s6 op_sel_hi:[0,1]
	s_mov_b32 s6, 0xb853ba0c
	v_add_f16_e32 v37, v28, v31
	v_pk_add_f16 v13, v24, v13
	v_pk_fma_f16 v24, v41, s14, v43 op_sel_hi:[0,1,1] neg_lo:[0,0,1] neg_hi:[0,0,1]
	s_mov_b32 s15, 0x3abbb93d
	v_pk_mul_f16 v45, v39, s6 op_sel_hi:[0,1]
	s_mov_b32 s6, 0xba0cb482
	v_add_f16_e32 v35, v29, v30
	v_pk_add_f16 v13, v24, v13
	v_pk_fma_f16 v24, v37, s15, v45 op_sel_hi:[0,1,1] neg_lo:[0,0,1] neg_hi:[0,0,1]
	s_mov_b32 s16, 0xb93dbbad
	v_pk_mul_f16 v47, v36, s6 op_sel_hi:[0,1]
	s_mov_b32 s6, 0xbb47ba0c
	v_pk_add_f16 v13, v24, v13
	v_pk_fma_f16 v24, v35, s16, v47 op_sel_hi:[0,1,1] neg_lo:[0,0,1] neg_hi:[0,0,1]
	s_mov_b32 s17, 0x36a6b93d
	v_pk_mul_f16 v49, v51, s6 op_sel_hi:[0,1]
	s_mov_b32 s6, 0xba0c3beb
	v_pk_add_f16 v24, v24, v13
	v_pk_fma_f16 v13, v46, s17, v49 op_sel_hi:[0,1,1] neg_lo:[0,0,1] neg_hi:[0,0,1]
	s_mov_b32 s18, 0xb93db08e
	v_pk_mul_f16 v50, v48, s6 op_sel_hi:[0,1]
	v_pk_add_f16 v13, v4, v13 op_sel_hi:[0,1]
	v_pk_fma_f16 v52, v42, s18, v50 op_sel_hi:[0,1,1] neg_lo:[0,0,1] neg_hi:[0,0,1]
	s_mov_b32 s6, 0x3482b853
	v_pk_add_f16 v13, v52, v13
	s_mov_b32 s19, 0xbbad3abb
	v_pk_mul_f16 v52, v44, s6 op_sel_hi:[0,1]
	v_pk_fma_f16 v53, v41, s19, v52 op_sel_hi:[0,1,1] neg_lo:[0,0,1] neg_hi:[0,0,1]
	s_mov_b32 s6, 0x3bebb482
	v_pk_add_f16 v13, v53, v13
	s_mov_b32 s22, 0xb08ebbad
	v_pk_mul_f16 v53, v39, s6 op_sel_hi:[0,1]
	;; [unrolled: 5-line block ×3, first 2 shown]
	v_pk_fma_f16 v55, v35, s23, v54 op_sel_hi:[0,1,1] neg_lo:[0,0,1] neg_hi:[0,0,1]
	v_pk_add_f16 v13, v55, v13
	s_waitcnt lgkmcnt(0)
	s_barrier
	s_and_saveexec_b64 s[6:7], s[0:1]
	s_cbranch_execz .LBB0_29
; %bb.28:
	v_add_f16_e32 v25, v4, v25
	v_add_f16_e32 v25, v25, v26
	;; [unrolled: 1-line block ×3, first 2 shown]
	v_mul_f16_e32 v26, 0xb482, v51
	s_mov_b32 s0, 0xbbad
	v_add_f16_e32 v25, v25, v28
	v_fma_f16 v27, v46, s0, v26
	v_fma_f16 v26, v46, s0, -v26
	v_mul_f16_e32 v28, 0x3853, v48
	s_movk_i32 s0, 0x3abb
	v_add_f16_e32 v25, v25, v29
	v_add_f16_e32 v26, v4, v26
	v_fma_f16 v29, v42, s0, v28
	v_fma_f16 v28, v42, s0, -v28
	v_add_f16_e32 v27, v4, v27
	v_add_f16_e32 v26, v28, v26
	v_mul_f16_e32 v28, 0xba0c, v44
	s_mov_b32 s0, 0xb93d
	v_add_f16_e32 v27, v29, v27
	v_fma_f16 v29, v41, s0, v28
	v_fma_f16 v28, v41, s0, -v28
	v_add_f16_e32 v26, v28, v26
	v_mul_f16_e32 v28, 0x3b47, v39
	s_movk_i32 s0, 0x36a6
	v_pk_mul_f16 v55, v46, s8 op_sel_hi:[0,1]
	v_add_f16_e32 v27, v29, v27
	v_fma_f16 v29, v37, s0, v28
	v_fma_f16 v28, v37, s0, -v28
	v_pk_mul_f16 v56, v42, s9 op_sel_hi:[0,1]
	v_add_f16_e32 v26, v28, v26
	v_pk_add_f16 v28, v38, v55
	v_pk_mul_f16 v57, v41, s14 op_sel_hi:[0,1]
	v_add_f16_e32 v25, v25, v30
	v_add_f16_e32 v27, v29, v27
	;; [unrolled: 1-line block ×3, first 2 shown]
	v_add_f16_sdwa v28, v4, v28 dst_sel:DWORD dst_unused:UNUSED_PAD src0_sel:DWORD src1_sel:WORD_1
	v_pk_add_f16 v30, v40, v56
	v_pk_mul_f16 v58, v37, s15 op_sel_hi:[0,1]
	v_add_f16_e32 v29, v30, v29
	v_add_f16_sdwa v28, v30, v28 dst_sel:DWORD dst_unused:UNUSED_PAD src0_sel:WORD_1 src1_sel:DWORD
	v_pk_add_f16 v30, v43, v57
	v_pk_mul_f16 v59, v35, s16 op_sel_hi:[0,1]
	v_add_f16_e32 v29, v30, v29
	v_add_f16_sdwa v28, v30, v28 dst_sel:DWORD dst_unused:UNUSED_PAD src0_sel:WORD_1 src1_sel:DWORD
	;; [unrolled: 4-line block ×4, first 2 shown]
	v_pk_add_f16 v30, v49, v60
	v_pk_mul_f16 v62, v41, s19 op_sel_hi:[0,1]
	v_add_f16_e32 v25, v25, v31
	v_add_f16_sdwa v31, v4, v30 dst_sel:DWORD dst_unused:UNUSED_PAD src0_sel:DWORD src1_sel:WORD_1
	v_add_f16_e32 v4, v4, v30
	v_pk_add_f16 v30, v50, v61
	v_pk_mul_f16 v63, v37, s22 op_sel_hi:[0,1]
	v_add_f16_sdwa v31, v30, v31 dst_sel:DWORD dst_unused:UNUSED_PAD src0_sel:WORD_1 src1_sel:DWORD
	v_add_f16_e32 v4, v30, v4
	v_pk_add_f16 v30, v52, v62
	v_pk_mul_f16 v64, v35, s23 op_sel_hi:[0,1]
	v_add_f16_sdwa v31, v30, v31 dst_sel:DWORD dst_unused:UNUSED_PAD src0_sel:WORD_1 src1_sel:DWORD
	v_add_f16_e32 v4, v30, v4
	v_pk_add_f16 v30, v53, v63
	v_add_f16_sdwa v31, v30, v31 dst_sel:DWORD dst_unused:UNUSED_PAD src0_sel:WORD_1 src1_sel:DWORD
	v_add_f16_e32 v4, v30, v4
	v_pk_add_f16 v30, v54, v64
	v_add_f16_sdwa v31, v30, v31 dst_sel:DWORD dst_unused:UNUSED_PAD src0_sel:WORD_1 src1_sel:DWORD
	v_add_f16_e32 v4, v30, v4
	v_mul_f16_e32 v30, 0xbbeb, v36
	s_mov_b32 s0, 0xb08e
	v_add_f16_e32 v25, v25, v32
	v_fma_f16 v32, v35, s0, v30
	v_fma_f16 v30, v35, s0, -v30
	v_add_f16_e32 v26, v30, v26
	v_mov_b32_e32 v30, 1
	v_add_f16_e32 v25, v25, v33
	v_mul_u32_u24_e32 v10, 0x42, v10
	v_lshlrev_b32_sdwa v11, v30, v11 dst_sel:DWORD dst_unused:UNUSED_PAD src0_sel:DWORD src1_sel:BYTE_0
	v_add_f16_e32 v25, v25, v34
	v_add3_u32 v10, 0, v10, v11
	v_add_f16_e32 v27, v32, v27
	ds_write_b16 v10, v25
	ds_write_b16 v10, v29 offset:6
	ds_write_b16 v10, v31 offset:12
	;; [unrolled: 1-line block ×7, first 2 shown]
	ds_write_b16_d16_hi v10, v24 offset:48
	ds_write_b16_d16_hi v10, v13 offset:54
	ds_write_b16 v10, v24 offset:60
.LBB0_29:
	s_or_b64 exec, exec, s[6:7]
	s_waitcnt lgkmcnt(0)
	s_barrier
	ds_read_u16 v4, v0
	ds_read_u16 v31, v0 offset:528
	ds_read_u16 v30, v0 offset:1056
	;; [unrolled: 1-line block ×6, first 2 shown]
                                        ; implicit-def: $vgpr26
                                        ; implicit-def: $vgpr25
                                        ; implicit-def: $vgpr27
	s_and_saveexec_b64 s[0:1], s[2:3]
	s_cbranch_execz .LBB0_31
; %bb.30:
	ds_read_u16 v13, v9
	ds_read_u16 v24, v0 offset:990
	ds_read_u16 v32, v0 offset:1518
	ds_read_u16 v33, v0 offset:2046
	ds_read_u16 v26, v0 offset:2574
	ds_read_u16 v27, v0 offset:3102
	ds_read_u16 v25, v0 offset:3630
	s_mov_b32 s6, 0x5040100
	s_waitcnt lgkmcnt(4)
	v_perm_b32 v13, v32, v13, s6
	s_waitcnt lgkmcnt(3)
	v_perm_b32 v24, v24, v33, s6
.LBB0_31:
	s_or_b64 exec, exec, s[0:1]
	s_movk_i32 s0, 0xf9
	v_mul_lo_u16_sdwa v32, v3, s0 dst_sel:DWORD dst_unused:UNUSED_PAD src0_sel:BYTE_0 src1_sel:DWORD
	v_lshrrev_b16_e32 v46, 13, v32
	s_mov_b32 s0, 0xf83f
	v_mul_lo_u16_e32 v32, 33, v46
	v_mul_u32_u24_sdwa v37, v7, s0 dst_sel:DWORD dst_unused:UNUSED_PAD src0_sel:WORD_0 src1_sel:DWORD
	v_sub_u16_e32 v47, v3, v32
	v_mov_b32_e32 v32, 6
	v_lshrrev_b32_e32 v37, 21, v37
	v_mul_u32_u24_sdwa v32, v47, v32 dst_sel:DWORD dst_unused:UNUSED_PAD src0_sel:BYTE_0 src1_sel:DWORD
	v_mul_lo_u16_e32 v37, 33, v37
	v_lshlrev_b32_e32 v32, 2, v32
	v_sub_u16_e32 v48, v7, v37
	global_load_dwordx4 v[33:36], v32, s[12:13] offset:120
	global_load_dwordx2 v[38:39], v32, s[12:13] offset:136
	v_mul_u32_u24_e32 v32, 6, v48
	v_lshlrev_b32_e32 v32, 2, v32
	global_load_dwordx4 v[40:43], v32, s[12:13] offset:120
	global_load_dwordx2 v[44:45], v32, s[12:13] offset:136
	v_lshrrev_b32_e32 v52, 16, v12
	v_lshrrev_b32_e32 v49, 16, v8
	;; [unrolled: 1-line block ×4, first 2 shown]
	s_movk_i32 s7, 0x2b26
	s_movk_i32 s6, 0x3b00
	s_mov_b32 s8, 0xbcab
	s_movk_i32 s9, 0x39e0
	s_mov_b32 s14, 0xb9e0
	;; [unrolled: 2-line block ×3, first 2 shown]
	s_movk_i32 s16, 0x370e
	s_waitcnt vmcnt(0) lgkmcnt(0)
	s_barrier
	v_mul_f16_sdwa v32, v31, v33 dst_sel:DWORD dst_unused:UNUSED_PAD src0_sel:DWORD src1_sel:WORD_1
	v_mul_f16_sdwa v37, v23, v33 dst_sel:DWORD dst_unused:UNUSED_PAD src0_sel:DWORD src1_sel:WORD_1
	;; [unrolled: 1-line block ×14, first 2 shown]
	v_fma_f16 v32, v23, v33, -v32
	v_fma_f16 v33, v31, v33, v37
	v_fma_f16 v31, v22, v34, -v53
	v_fma_f16 v34, v30, v34, v54
	;; [unrolled: 2-line block ×5, first 2 shown]
	v_fma_f16 v38, v16, v39, -v61
	v_mul_f16_sdwa v63, v50, v40 dst_sel:DWORD dst_unused:UNUSED_PAD src0_sel:DWORD src1_sel:WORD_1
	v_mul_f16_sdwa v64, v49, v40 dst_sel:DWORD dst_unused:UNUSED_PAD src0_sel:DWORD src1_sel:WORD_1
	;; [unrolled: 1-line block ×8, first 2 shown]
	v_fma_f16 v39, v10, v39, v62
	v_fma_f16 v20, v24, v42, v68
	v_fma_f16 v21, v26, v43, v70
	v_add_f16_e32 v24, v32, v38
	v_add_f16_e32 v26, v31, v36
	v_mul_f16_sdwa v71, v27, v44 dst_sel:DWORD dst_unused:UNUSED_PAD src0_sel:DWORD src1_sel:WORD_1
	v_mul_f16_sdwa v73, v25, v45 dst_sel:DWORD dst_unused:UNUSED_PAD src0_sel:DWORD src1_sel:WORD_1
	v_fma_f16 v10, v49, v40, -v63
	v_fma_f16 v16, v50, v40, v64
	v_fma_f16 v11, v12, v41, -v65
	v_fma_f16 v18, v51, v41, v66
	;; [unrolled: 2-line block ×3, first 2 shown]
	v_fma_f16 v23, v25, v45, v74
	v_sub_f16_e32 v25, v33, v39
	v_sub_f16_e32 v27, v34, v37
	v_add_f16_e32 v40, v30, v35
	v_sub_f16_e32 v41, v28, v29
	v_add_f16_e32 v42, v26, v24
	v_fma_f16 v17, v17, v43, -v69
	v_fma_f16 v19, v19, v44, -v71
	;; [unrolled: 1-line block ×3, first 2 shown]
	v_sub_f16_e32 v43, v26, v24
	v_sub_f16_e32 v24, v24, v40
	;; [unrolled: 1-line block ×3, first 2 shown]
	v_add_f16_e32 v44, v41, v27
	v_sub_f16_e32 v45, v41, v27
	v_sub_f16_e32 v27, v27, v25
	v_add_f16_e32 v40, v40, v42
	v_sub_f16_e32 v41, v25, v41
	v_add_f16_e32 v25, v44, v25
	v_mul_f16_e32 v24, 0x3a52, v24
	v_mul_f16_e32 v42, 0x2b26, v26
	;; [unrolled: 1-line block ×3, first 2 shown]
	v_add_f16_e32 v14, v14, v40
	v_mul_f16_e32 v45, 0x3b00, v27
	v_fma_f16 v40, v40, s8, v14
	v_fma_f16 v26, v26, s7, v24
	v_fma_f16 v42, v43, s9, -v42
	v_fma_f16 v24, v43, s14, -v24
	v_fma_f16 v43, v41, s15, v44
	v_fma_f16 v27, v27, s6, -v44
	v_fma_f16 v41, v41, s17, -v45
	v_add_f16_e32 v26, v26, v40
	v_add_f16_e32 v42, v42, v40
	;; [unrolled: 1-line block ×3, first 2 shown]
	v_fma_f16 v40, v25, s16, v43
	v_fma_f16 v27, v25, s16, v27
	v_fma_f16 v25, v25, s16, v41
	v_add_f16_e32 v41, v40, v26
	v_add_f16_e32 v43, v25, v24
	v_sub_f16_e32 v24, v24, v25
	v_sub_f16_e32 v25, v26, v40
	v_mov_b32_e32 v40, 1
	v_mul_u32_u24_e32 v26, 0x1ce, v46
	v_lshlrev_b32_sdwa v40, v40, v47 dst_sel:DWORD dst_unused:UNUSED_PAD src0_sel:DWORD src1_sel:BYTE_0
	v_add3_u32 v40, 0, v26, v40
	v_sub_f16_e32 v44, v42, v27
	v_add_f16_e32 v27, v27, v42
	ds_write_b16 v40, v14
	ds_write_b16 v40, v41 offset:66
	ds_write_b16 v40, v43 offset:132
	;; [unrolled: 1-line block ×6, first 2 shown]
	v_lshl_add_u32 v24, v48, 1, 0
	s_and_saveexec_b64 s[0:1], s[2:3]
	s_cbranch_execz .LBB0_33
; %bb.32:
	v_add_f16_e32 v14, v10, v15
	v_add_f16_e32 v27, v11, v19
	;; [unrolled: 1-line block ×4, first 2 shown]
	v_sub_f16_e32 v26, v14, v25
	v_sub_f16_e32 v41, v25, v27
	v_add_f16_e32 v25, v25, v43
	v_sub_f16_e32 v43, v16, v23
	v_sub_f16_e32 v44, v21, v20
	v_sub_f16_e32 v46, v18, v22
	v_sub_f16_e32 v45, v43, v44
	v_sub_f16_e32 v47, v44, v46
	v_add_f16_e32 v44, v44, v46
	v_sub_f16_e32 v14, v27, v14
	v_sub_f16_e32 v27, v46, v43
	v_mul_f16_e32 v26, 0x3a52, v26
	v_mul_f16_e32 v42, 0x2b26, v41
	v_add_f16_e32 v8, v8, v25
	v_mul_f16_e32 v47, 0xb846, v47
	v_add_f16_e32 v44, v44, v43
	v_mul_f16_e32 v43, 0x3b00, v27
	v_fma_f16 v41, v41, s7, v26
	v_fma_f16 v25, v25, s8, v8
	;; [unrolled: 1-line block ×3, first 2 shown]
	v_fma_f16 v26, v14, s14, -v26
	v_fma_f16 v43, v45, s17, -v43
	;; [unrolled: 1-line block ×4, first 2 shown]
	v_add_f16_e32 v41, v41, v25
	v_fma_f16 v48, v44, s16, v48
	v_add_f16_e32 v26, v26, v25
	v_fma_f16 v43, v44, s16, v43
	v_fma_f16 v27, v44, s16, v27
	v_add_f16_e32 v14, v14, v25
	v_sub_f16_e32 v49, v41, v48
	v_sub_f16_e32 v45, v26, v43
	v_add_f16_e32 v25, v27, v14
	v_sub_f16_e32 v14, v14, v27
	v_add_f16_e32 v26, v43, v26
	v_add_f16_e32 v27, v48, v41
	ds_write_b16 v24, v8 offset:3234
	ds_write_b16 v24, v27 offset:3300
	;; [unrolled: 1-line block ×7, first 2 shown]
.LBB0_33:
	s_or_b64 exec, exec, s[0:1]
	v_add_f16_e32 v8, v33, v39
	v_add_f16_e32 v25, v34, v37
	v_sub_f16_e32 v14, v32, v38
	v_sub_f16_e32 v26, v31, v36
	v_add_f16_e32 v27, v29, v28
	v_sub_f16_e32 v28, v35, v30
	v_add_f16_e32 v29, v25, v8
	v_sub_f16_e32 v30, v25, v8
	v_sub_f16_e32 v8, v8, v27
	;; [unrolled: 1-line block ×3, first 2 shown]
	v_add_f16_e32 v31, v28, v26
	v_sub_f16_e32 v32, v28, v26
	v_sub_f16_e32 v26, v26, v14
	v_add_f16_e32 v27, v27, v29
	v_sub_f16_e32 v28, v14, v28
	v_add_f16_e32 v14, v31, v14
	v_add_f16_e32 v31, v4, v27
	v_mul_f16_e32 v4, 0x3a52, v8
	v_mul_f16_e32 v8, 0x2b26, v25
	;; [unrolled: 1-line block ×4, first 2 shown]
	v_fma_f16 v27, v27, s8, v31
	v_fma_f16 v25, v25, s7, v4
	v_fma_f16 v8, v30, s9, -v8
	v_fma_f16 v4, v30, s14, -v4
	v_fma_f16 v30, v28, s15, v29
	v_fma_f16 v26, v26, s6, -v29
	v_fma_f16 v28, v28, s17, -v32
	v_add_f16_e32 v25, v25, v27
	v_add_f16_e32 v8, v8, v27
	;; [unrolled: 1-line block ×3, first 2 shown]
	v_fma_f16 v27, v14, s16, v30
	v_fma_f16 v26, v14, s16, v26
	;; [unrolled: 1-line block ×3, first 2 shown]
	v_sub_f16_e32 v30, v25, v27
	v_sub_f16_e32 v32, v4, v14
	v_add_f16_e32 v33, v26, v8
	v_sub_f16_e32 v34, v8, v26
	v_add_f16_e32 v35, v14, v4
	v_add_f16_e32 v36, v27, v25
	s_waitcnt lgkmcnt(0)
	s_barrier
	ds_read_u16 v8, v0
	ds_read_u16 v25, v0 offset:924
	ds_read_u16 v4, v9
	ds_read_u16 v14, v0 offset:3234
	ds_read_u16 v27, v0 offset:2772
	;; [unrolled: 1-line block ×5, first 2 shown]
	s_waitcnt lgkmcnt(0)
	s_barrier
	ds_write_b16 v40, v31
	ds_write_b16 v40, v30 offset:66
	ds_write_b16 v40, v32 offset:132
	;; [unrolled: 1-line block ×6, first 2 shown]
	s_and_saveexec_b64 s[0:1], s[2:3]
	s_cbranch_execz .LBB0_35
; %bb.34:
	v_add_f16_e32 v16, v16, v23
	v_sub_f16_e32 v10, v10, v15
	v_add_f16_e32 v15, v18, v22
	v_add_f16_e32 v18, v20, v21
	v_sub_f16_e32 v11, v11, v19
	v_sub_f16_e32 v12, v17, v12
	v_add_f16_e32 v17, v15, v16
	v_sub_f16_e32 v19, v15, v16
	v_sub_f16_e32 v16, v16, v18
	;; [unrolled: 1-line block ×3, first 2 shown]
	v_mul_f16_e32 v16, 0x3a52, v16
	s_movk_i32 s2, 0x2b26
	v_add_f16_e32 v17, v18, v17
	v_mul_f16_e32 v18, 0x2b26, v15
	v_fma_f16 v15, v15, s2, v16
	s_movk_i32 s2, 0x39e0
	v_add_f16_e32 v20, v12, v11
	v_sub_f16_e32 v21, v12, v11
	v_fma_f16 v18, v19, s2, -v18
	s_mov_b32 s2, 0xb9e0
	v_sub_f16_e32 v12, v10, v12
	v_sub_f16_e32 v11, v11, v10
	v_add_f16_e32 v10, v20, v10
	v_mul_f16_e32 v20, 0xb846, v21
	v_fma_f16 v16, v19, s2, -v16
	s_movk_i32 s2, 0x3574
	v_add_f16_e32 v13, v13, v17
	s_movk_i32 s3, 0x3b00
	v_mul_f16_e32 v21, 0x3b00, v11
	s_mov_b32 s6, 0xbcab
	v_fma_f16 v19, v12, s2, v20
	s_mov_b32 s2, 0xb574
	v_fma_f16 v17, v17, s6, v13
	v_fma_f16 v11, v11, s3, -v20
	v_fma_f16 v12, v12, s2, -v21
	s_movk_i32 s2, 0x370e
	v_add_f16_e32 v15, v15, v17
	v_add_f16_e32 v18, v18, v17
	;; [unrolled: 1-line block ×3, first 2 shown]
	v_fma_f16 v17, v10, s2, v19
	v_fma_f16 v11, v10, s2, v11
	;; [unrolled: 1-line block ×3, first 2 shown]
	v_sub_f16_e32 v12, v15, v17
	v_sub_f16_e32 v19, v16, v10
	v_add_f16_e32 v20, v11, v18
	v_sub_f16_e32 v11, v18, v11
	v_add_f16_e32 v10, v10, v16
	v_add_f16_e32 v15, v17, v15
	ds_write_b16 v24, v13 offset:3234
	ds_write_b16 v24, v12 offset:3300
	ds_write_b16 v24, v19 offset:3366
	ds_write_b16 v24, v20 offset:3432
	ds_write_b16 v24, v11 offset:3498
	ds_write_b16 v24, v10 offset:3564
	ds_write_b16 v24, v15 offset:3630
.LBB0_35:
	s_or_b64 exec, exec, s[0:1]
	v_mul_u32_u24_e32 v10, 3, v3
	v_lshlrev_b32_e32 v10, 2, v10
	s_waitcnt lgkmcnt(0)
	s_barrier
	global_load_dwordx3 v[10:12], v10, s[12:13] offset:912
	ds_read_u16 v13, v0
	ds_read_u16 v15, v0 offset:924
	ds_read_u16 v16, v9
	ds_read_u16 v17, v0 offset:3234
	ds_read_u16 v18, v0 offset:2772
	ds_read_u16 v19, v0 offset:2310
	ds_read_u16 v20, v0 offset:1848
	ds_read_u16 v21, v0 offset:1386
	s_waitcnt vmcnt(0) lgkmcnt(0)
	s_barrier
	v_mul_f16_sdwa v22, v15, v10 dst_sel:DWORD dst_unused:UNUSED_PAD src0_sel:DWORD src1_sel:WORD_1
	v_mul_f16_sdwa v23, v25, v10 dst_sel:DWORD dst_unused:UNUSED_PAD src0_sel:DWORD src1_sel:WORD_1
	;; [unrolled: 1-line block ×12, first 2 shown]
	v_fma_f16 v22, v25, v10, -v22
	v_fma_f16 v15, v15, v10, v23
	v_fma_f16 v23, v29, v11, -v24
	v_fma_f16 v20, v20, v11, v30
	;; [unrolled: 2-line block ×6, first 2 shown]
	v_sub_f16_e32 v17, v8, v23
	v_sub_f16_e32 v19, v13, v20
	;; [unrolled: 1-line block ×8, first 2 shown]
	v_fma_f16 v8, v8, 2.0, -v17
	v_fma_f16 v13, v13, 2.0, -v19
	;; [unrolled: 1-line block ×4, first 2 shown]
	v_sub_f16_e32 v18, v17, v18
	v_fma_f16 v4, v4, 2.0, -v21
	v_fma_f16 v16, v16, 2.0, -v11
	;; [unrolled: 1-line block ×4, first 2 shown]
	v_sub_f16_e32 v12, v21, v12
	v_add_f16_e32 v24, v11, v14
	v_sub_f16_e32 v14, v8, v22
	v_sub_f16_e32 v22, v13, v15
	v_fma_f16 v15, v17, 2.0, -v18
	v_sub_f16_e32 v17, v4, v23
	v_sub_f16_e32 v23, v16, v10
	v_fma_f16 v10, v21, 2.0, -v12
	v_fma_f16 v21, v11, 2.0, -v24
	ds_write_b16 v0, v18 offset:1386
	ds_write_b16 v0, v12 offset:3234
	v_fma_f16 v8, v8, 2.0, -v14
	v_fma_f16 v18, v13, 2.0, -v22
	;; [unrolled: 1-line block ×4, first 2 shown]
	ds_write_b16 v0, v15 offset:462
	ds_write_b16 v0, v14 offset:924
	;; [unrolled: 1-line block ×4, first 2 shown]
	ds_write_b16 v0, v8
	ds_write_b16 v0, v4 offset:1848
	s_waitcnt lgkmcnt(0)
	s_barrier
	ds_read_u16 v10, v0
	ds_read_u16 v11, v0 offset:924
	ds_read_u16 v14, v0 offset:2310
	;; [unrolled: 1-line block ×3, first 2 shown]
	ds_read_u16 v12, v9
	ds_read_u16 v17, v0 offset:3234
	ds_read_u16 v15, v0 offset:1848
	;; [unrolled: 1-line block ×3, first 2 shown]
	v_add_f16_e32 v20, v19, v20
	v_fma_f16 v19, v19, 2.0, -v20
	s_waitcnt lgkmcnt(0)
	s_barrier
	ds_write_b16 v0, v18
	ds_write_b16 v0, v19 offset:462
	ds_write_b16 v0, v22 offset:924
	;; [unrolled: 1-line block ×7, first 2 shown]
	s_waitcnt lgkmcnt(0)
	s_barrier
	s_and_saveexec_b64 s[0:1], vcc
	s_cbranch_execz .LBB0_37
; %bb.36:
	v_mov_b32_e32 v4, 0
	v_lshlrev_b64 v[18:19], 2, v[3:4]
	v_mov_b32_e32 v22, s13
	v_add_co_u32_e32 v18, vcc, s12, v18
	v_addc_co_u32_e32 v19, vcc, v22, v19, vcc
	v_mov_b32_e32 v8, v4
	v_add_co_u32_e32 v20, vcc, 0x1000, v18
	v_lshlrev_b64 v[7:8], 2, v[7:8]
	v_addc_co_u32_e32 v21, vcc, 0, v19, vcc
	v_add_co_u32_e32 v7, vcc, s12, v7
	v_addc_co_u32_e32 v8, vcc, v22, v8, vcc
	global_load_dword v22, v[20:21], off offset:2360
	global_load_dword v23, v[7:8], off offset:3684
	global_load_dword v24, v[20:21], off offset:1436
	global_load_dword v25, v[18:19], off offset:3684
	ds_read_u16 v8, v9
	ds_read_u16 v9, v0 offset:3234
	ds_read_u16 v18, v0 offset:2772
	;; [unrolled: 1-line block ×6, first 2 shown]
	ds_read_u16 v27, v0
	v_lshrrev_b32_e32 v0, 2, v3
	s_mov_b32 s2, 0x23769481
	v_mul_hi_u32 v28, v0, s2
	v_mul_lo_u32 v7, s5, v5
	v_mul_lo_u32 v6, s4, v6
	v_mad_u64_u32 v[4:5], s[0:1], s4, v5, 0
	v_lshlrev_b64 v[0:1], 2, v[1:2]
	v_lshrrev_b32_e32 v2, 5, v28
	v_mul_u32_u24_e32 v2, 0x39c, v2
	v_sub_u32_e32 v28, v3, v2
	v_add3_u32 v5, v5, v6, v7
	v_mad_u64_u32 v[6:7], s[0:1], s20, v28, 0
	v_lshlrev_b64 v[4:5], 2, v[4:5]
	v_mov_b32_e32 v29, s11
	v_add_co_u32_e32 v30, vcc, s10, v4
	v_mov_b32_e32 v2, v7
	v_addc_co_u32_e32 v29, vcc, v29, v5, vcc
	v_mad_u64_u32 v[4:5], s[0:1], s21, v28, v[2:3]
	v_add_co_u32_e32 v30, vcc, v30, v0
	v_addc_co_u32_e32 v29, vcc, v29, v1, vcc
	v_mov_b32_e32 v7, v4
	s_movk_i32 s3, 0x738
	s_waitcnt vmcnt(3) lgkmcnt(6)
	v_mul_f16_sdwa v0, v9, v22 dst_sel:DWORD dst_unused:UNUSED_PAD src0_sel:DWORD src1_sel:WORD_1
	s_waitcnt vmcnt(2) lgkmcnt(4)
	v_mul_f16_sdwa v5, v19, v23 dst_sel:DWORD dst_unused:UNUSED_PAD src0_sel:DWORD src1_sel:WORD_1
	v_mul_f16_sdwa v1, v17, v22 dst_sel:DWORD dst_unused:UNUSED_PAD src0_sel:DWORD src1_sel:WORD_1
	s_waitcnt vmcnt(0) lgkmcnt(3)
	v_mul_f16_sdwa v32, v20, v25 dst_sel:DWORD dst_unused:UNUSED_PAD src0_sel:DWORD src1_sel:WORD_1
	v_mul_f16_sdwa v33, v15, v25 dst_sel:DWORD dst_unused:UNUSED_PAD src0_sel:DWORD src1_sel:WORD_1
	;; [unrolled: 1-line block ×5, first 2 shown]
	v_fma_f16 v5, v14, v23, -v5
	v_fma_f16 v14, v15, v25, -v32
	v_fma_f16 v15, v25, v20, v33
	v_fma_f16 v0, v17, v22, -v0
	v_fma_f16 v1, v22, v9, v1
	;; [unrolled: 2-line block ×3, first 2 shown]
	v_sub_f16_e32 v14, v10, v14
	s_waitcnt lgkmcnt(0)
	v_sub_f16_e32 v15, v27, v15
	v_fma_f16 v9, v23, v19, v31
	v_sub_f16_e32 v16, v13, v0
	v_sub_f16_e32 v17, v21, v1
	;; [unrolled: 1-line block ×4, first 2 shown]
	v_fma_f16 v2, v10, 2.0, -v14
	v_fma_f16 v4, v27, 2.0, -v15
	v_lshlrev_b64 v[0:1], 2, v[6:7]
	v_add_u32_e32 v6, 0x39c, v28
	v_add_u32_e32 v7, 0xe7, v3
	v_sub_f16_e32 v20, v12, v5
	v_pack_b32_f16 v10, v2, v4
	v_mad_u64_u32 v[4:5], s[0:1], s20, v6, 0
	v_lshrrev_b32_e32 v2, 2, v7
	v_mul_hi_u32 v23, v2, s2
	v_mov_b32_e32 v2, v5
	v_mad_u64_u32 v[5:6], s[0:1], s21, v6, v[2:3]
	v_lshrrev_b32_e32 v2, 5, v23
	v_mul_u32_u24_e32 v6, 0x39c, v2
	v_sub_u32_e32 v6, v7, v6
	v_mad_u32_u24 v23, v2, s3, v6
	v_mad_u64_u32 v[6:7], s[0:1], s20, v23, 0
	v_add_co_u32_e32 v0, vcc, v30, v0
	v_addc_co_u32_e32 v1, vcc, v29, v1, vcc
	v_mov_b32_e32 v2, v7
	global_store_dword v[0:1], v10, off
	v_lshlrev_b64 v[0:1], 2, v[4:5]
	v_mad_u64_u32 v[4:5], s[0:1], s21, v23, v[2:3]
	v_add_co_u32_e32 v0, vcc, v30, v0
	v_addc_co_u32_e32 v1, vcc, v29, v1, vcc
	v_pack_b32_f16 v2, v14, v15
	v_mov_b32_e32 v7, v4
	global_store_dword v[0:1], v2, off
	v_lshlrev_b64 v[0:1], 2, v[6:7]
	v_add_u32_e32 v6, 0x39c, v23
	v_add_u32_e32 v7, 0x1ce, v3
	v_mad_u64_u32 v[4:5], s[0:1], s20, v6, 0
	v_lshrrev_b32_e32 v2, 2, v7
	v_mul_hi_u32 v10, v2, s2
	v_mov_b32_e32 v2, v5
	v_mad_u64_u32 v[5:6], s[0:1], s21, v6, v[2:3]
	v_lshrrev_b32_e32 v2, 5, v10
	v_mul_u32_u24_e32 v6, 0x39c, v2
	v_sub_u32_e32 v6, v7, v6
	v_mad_u32_u24 v10, v2, s3, v6
	v_mad_u64_u32 v[6:7], s[0:1], s20, v10, 0
	v_sub_f16_e32 v9, v8, v9
	v_fma_f16 v12, v12, 2.0, -v20
	v_fma_f16 v8, v8, 2.0, -v9
	v_add_co_u32_e32 v0, vcc, v30, v0
	v_addc_co_u32_e32 v1, vcc, v29, v1, vcc
	v_pack_b32_f16 v8, v12, v8
	v_mov_b32_e32 v2, v7
	global_store_dword v[0:1], v8, off
	v_lshlrev_b64 v[0:1], 2, v[4:5]
	v_mad_u64_u32 v[4:5], s[0:1], s21, v10, v[2:3]
	v_add_co_u32_e32 v0, vcc, v30, v0
	v_addc_co_u32_e32 v1, vcc, v29, v1, vcc
	v_pack_b32_f16 v2, v20, v9
	v_mov_b32_e32 v7, v4
	global_store_dword v[0:1], v2, off
	v_lshlrev_b64 v[0:1], 2, v[6:7]
	v_add_u32_e32 v6, 0x39c, v10
	v_mad_u64_u32 v[4:5], s[0:1], s20, v6, 0
	v_fma_f16 v11, v11, 2.0, -v18
	v_fma_f16 v22, v26, 2.0, -v19
	v_mov_b32_e32 v2, v5
	v_mad_u64_u32 v[5:6], s[0:1], s21, v6, v[2:3]
	v_add_u32_e32 v2, 0x2b5, v3
	v_lshrrev_b32_e32 v3, 2, v2
	v_mul_hi_u32 v3, v3, s2
	v_add_co_u32_e32 v0, vcc, v30, v0
	v_addc_co_u32_e32 v1, vcc, v29, v1, vcc
	v_pack_b32_f16 v7, v11, v22
	v_lshrrev_b32_e32 v3, 5, v3
	global_store_dword v[0:1], v7, off
	v_lshlrev_b64 v[0:1], 2, v[4:5]
	v_mul_u32_u24_e32 v4, 0x39c, v3
	v_sub_u32_e32 v2, v2, v4
	v_mad_u32_u24 v5, v3, s3, v2
	v_mad_u64_u32 v[2:3], s[0:1], s20, v5, 0
	v_add_u32_e32 v7, 0x39c, v5
	v_add_co_u32_e32 v0, vcc, v30, v0
	v_mad_u64_u32 v[3:4], s[0:1], s21, v5, v[3:4]
	v_mad_u64_u32 v[4:5], s[0:1], s20, v7, 0
	v_addc_co_u32_e32 v1, vcc, v29, v1, vcc
	v_pack_b32_f16 v6, v18, v19
	global_store_dword v[0:1], v6, off
	v_lshlrev_b64 v[0:1], 2, v[2:3]
	v_mov_b32_e32 v2, v5
	v_mad_u64_u32 v[2:3], s[0:1], s21, v7, v[2:3]
	v_fma_f16 v13, v13, 2.0, -v16
	v_fma_f16 v21, v21, 2.0, -v17
	v_add_co_u32_e32 v0, vcc, v30, v0
	v_addc_co_u32_e32 v1, vcc, v29, v1, vcc
	v_pack_b32_f16 v3, v13, v21
	v_mov_b32_e32 v5, v2
	global_store_dword v[0:1], v3, off
	v_lshlrev_b64 v[0:1], 2, v[4:5]
	v_pack_b32_f16 v2, v16, v17
	v_add_co_u32_e32 v0, vcc, v30, v0
	v_addc_co_u32_e32 v1, vcc, v29, v1, vcc
	global_store_dword v[0:1], v2, off
.LBB0_37:
	s_endpgm
	.section	.rodata,"a",@progbits
	.p2align	6, 0x0
	.amdhsa_kernel fft_rtc_fwd_len1848_factors_3_11_7_4_2_wgs_231_tpt_231_halfLds_half_op_CI_CI_sbrr_dirReg
		.amdhsa_group_segment_fixed_size 0
		.amdhsa_private_segment_fixed_size 0
		.amdhsa_kernarg_size 104
		.amdhsa_user_sgpr_count 6
		.amdhsa_user_sgpr_private_segment_buffer 1
		.amdhsa_user_sgpr_dispatch_ptr 0
		.amdhsa_user_sgpr_queue_ptr 0
		.amdhsa_user_sgpr_kernarg_segment_ptr 1
		.amdhsa_user_sgpr_dispatch_id 0
		.amdhsa_user_sgpr_flat_scratch_init 0
		.amdhsa_user_sgpr_private_segment_size 0
		.amdhsa_uses_dynamic_stack 0
		.amdhsa_system_sgpr_private_segment_wavefront_offset 0
		.amdhsa_system_sgpr_workgroup_id_x 1
		.amdhsa_system_sgpr_workgroup_id_y 0
		.amdhsa_system_sgpr_workgroup_id_z 0
		.amdhsa_system_sgpr_workgroup_info 0
		.amdhsa_system_vgpr_workitem_id 0
		.amdhsa_next_free_vgpr 75
		.amdhsa_next_free_sgpr 32
		.amdhsa_reserve_vcc 1
		.amdhsa_reserve_flat_scratch 0
		.amdhsa_float_round_mode_32 0
		.amdhsa_float_round_mode_16_64 0
		.amdhsa_float_denorm_mode_32 3
		.amdhsa_float_denorm_mode_16_64 3
		.amdhsa_dx10_clamp 1
		.amdhsa_ieee_mode 1
		.amdhsa_fp16_overflow 0
		.amdhsa_exception_fp_ieee_invalid_op 0
		.amdhsa_exception_fp_denorm_src 0
		.amdhsa_exception_fp_ieee_div_zero 0
		.amdhsa_exception_fp_ieee_overflow 0
		.amdhsa_exception_fp_ieee_underflow 0
		.amdhsa_exception_fp_ieee_inexact 0
		.amdhsa_exception_int_div_zero 0
	.end_amdhsa_kernel
	.text
.Lfunc_end0:
	.size	fft_rtc_fwd_len1848_factors_3_11_7_4_2_wgs_231_tpt_231_halfLds_half_op_CI_CI_sbrr_dirReg, .Lfunc_end0-fft_rtc_fwd_len1848_factors_3_11_7_4_2_wgs_231_tpt_231_halfLds_half_op_CI_CI_sbrr_dirReg
                                        ; -- End function
	.section	.AMDGPU.csdata,"",@progbits
; Kernel info:
; codeLenInByte = 9260
; NumSgprs: 36
; NumVgprs: 75
; ScratchSize: 0
; MemoryBound: 0
; FloatMode: 240
; IeeeMode: 1
; LDSByteSize: 0 bytes/workgroup (compile time only)
; SGPRBlocks: 4
; VGPRBlocks: 18
; NumSGPRsForWavesPerEU: 36
; NumVGPRsForWavesPerEU: 75
; Occupancy: 3
; WaveLimiterHint : 1
; COMPUTE_PGM_RSRC2:SCRATCH_EN: 0
; COMPUTE_PGM_RSRC2:USER_SGPR: 6
; COMPUTE_PGM_RSRC2:TRAP_HANDLER: 0
; COMPUTE_PGM_RSRC2:TGID_X_EN: 1
; COMPUTE_PGM_RSRC2:TGID_Y_EN: 0
; COMPUTE_PGM_RSRC2:TGID_Z_EN: 0
; COMPUTE_PGM_RSRC2:TIDIG_COMP_CNT: 0
	.type	__hip_cuid_56aacffc33353375,@object ; @__hip_cuid_56aacffc33353375
	.section	.bss,"aw",@nobits
	.globl	__hip_cuid_56aacffc33353375
__hip_cuid_56aacffc33353375:
	.byte	0                               ; 0x0
	.size	__hip_cuid_56aacffc33353375, 1

	.ident	"AMD clang version 19.0.0git (https://github.com/RadeonOpenCompute/llvm-project roc-6.4.0 25133 c7fe45cf4b819c5991fe208aaa96edf142730f1d)"
	.section	".note.GNU-stack","",@progbits
	.addrsig
	.addrsig_sym __hip_cuid_56aacffc33353375
	.amdgpu_metadata
---
amdhsa.kernels:
  - .args:
      - .actual_access:  read_only
        .address_space:  global
        .offset:         0
        .size:           8
        .value_kind:     global_buffer
      - .offset:         8
        .size:           8
        .value_kind:     by_value
      - .actual_access:  read_only
        .address_space:  global
        .offset:         16
        .size:           8
        .value_kind:     global_buffer
      - .actual_access:  read_only
        .address_space:  global
        .offset:         24
        .size:           8
        .value_kind:     global_buffer
      - .actual_access:  read_only
        .address_space:  global
        .offset:         32
        .size:           8
        .value_kind:     global_buffer
      - .offset:         40
        .size:           8
        .value_kind:     by_value
      - .actual_access:  read_only
        .address_space:  global
        .offset:         48
        .size:           8
        .value_kind:     global_buffer
      - .actual_access:  read_only
        .address_space:  global
        .offset:         56
        .size:           8
        .value_kind:     global_buffer
      - .offset:         64
        .size:           4
        .value_kind:     by_value
      - .actual_access:  read_only
        .address_space:  global
        .offset:         72
        .size:           8
        .value_kind:     global_buffer
      - .actual_access:  read_only
        .address_space:  global
        .offset:         80
        .size:           8
        .value_kind:     global_buffer
      - .actual_access:  read_only
        .address_space:  global
        .offset:         88
        .size:           8
        .value_kind:     global_buffer
      - .actual_access:  write_only
        .address_space:  global
        .offset:         96
        .size:           8
        .value_kind:     global_buffer
    .group_segment_fixed_size: 0
    .kernarg_segment_align: 8
    .kernarg_segment_size: 104
    .language:       OpenCL C
    .language_version:
      - 2
      - 0
    .max_flat_workgroup_size: 231
    .name:           fft_rtc_fwd_len1848_factors_3_11_7_4_2_wgs_231_tpt_231_halfLds_half_op_CI_CI_sbrr_dirReg
    .private_segment_fixed_size: 0
    .sgpr_count:     36
    .sgpr_spill_count: 0
    .symbol:         fft_rtc_fwd_len1848_factors_3_11_7_4_2_wgs_231_tpt_231_halfLds_half_op_CI_CI_sbrr_dirReg.kd
    .uniform_work_group_size: 1
    .uses_dynamic_stack: false
    .vgpr_count:     75
    .vgpr_spill_count: 0
    .wavefront_size: 64
amdhsa.target:   amdgcn-amd-amdhsa--gfx906
amdhsa.version:
  - 1
  - 2
...

	.end_amdgpu_metadata
